;; amdgpu-corpus repo=ROCm/rocFFT kind=compiled arch=gfx950 opt=O3
	.text
	.amdgcn_target "amdgcn-amd-amdhsa--gfx950"
	.amdhsa_code_object_version 6
	.protected	bluestein_single_back_len22_dim1_sp_op_CI_CI ; -- Begin function bluestein_single_back_len22_dim1_sp_op_CI_CI
	.globl	bluestein_single_back_len22_dim1_sp_op_CI_CI
	.p2align	8
	.type	bluestein_single_back_len22_dim1_sp_op_CI_CI,@function
bluestein_single_back_len22_dim1_sp_op_CI_CI: ; @bluestein_single_back_len22_dim1_sp_op_CI_CI
; %bb.0:
	s_load_dwordx4 s[12:15], s[0:1], 0x28
	v_lshrrev_b32_e32 v1, 1, v0
	v_mov_b32_e32 v45, 0
	v_lshl_or_b32 v42, s2, 5, v1
	v_mov_b32_e32 v43, v45
	s_waitcnt lgkmcnt(0)
	v_cmp_gt_u64_e32 vcc, s[12:13], v[42:43]
	s_and_saveexec_b64 s[2:3], vcc
	s_cbranch_execz .LBB0_10
; %bb.1:
	s_load_dwordx4 s[4:7], s[0:1], 0x18
	s_load_dwordx4 s[8:11], s[0:1], 0x0
	v_and_b32_e32 v43, 1, v0
	v_mov_b32_e32 v2, s14
	v_mov_b32_e32 v3, s15
	s_waitcnt lgkmcnt(0)
	s_load_dwordx4 s[16:19], s[4:5], 0x0
	v_lshlrev_b32_e32 v44, 3, v43
	global_load_dwordx2 v[26:27], v44, s[8:9]
	v_mul_u32_u24_e32 v67, 22, v1
	v_lshl_or_b32 v70, v67, 3, v44
	s_waitcnt lgkmcnt(0)
	v_mad_u64_u32 v[4:5], s[2:3], s18, v42, 0
	v_mov_b32_e32 v0, v5
	v_mad_u64_u32 v[8:9], s[2:3], s19, v42, v[0:1]
	v_mov_b32_e32 v5, v8
	v_mul_lo_u32 v7, s17, v43
	v_mul_lo_u32 v6, s16, v43
	v_lshl_add_u64 v[2:3], v[4:5], 3, v[2:3]
	v_lshl_add_u64 v[2:3], v[6:7], 3, v[2:3]
	s_lshl_b64 s[2:3], s[16:17], 4
	global_load_dwordx2 v[4:5], v[2:3], off
	v_lshl_add_u64 v[2:3], v[2:3], 0, s[2:3]
	global_load_dwordx2 v[20:21], v44, s[8:9] offset:16
	global_load_dwordx2 v[6:7], v[2:3], off
	v_lshl_add_u64 v[2:3], v[2:3], 0, s[2:3]
	global_load_dwordx2 v[8:9], v[2:3], off
	global_load_dwordx2 v[24:25], v44, s[8:9] offset:32
	global_load_dwordx2 v[22:23], v44, s[8:9] offset:48
	v_lshl_add_u64 v[2:3], v[2:3], 0, s[2:3]
	global_load_dwordx2 v[10:11], v[2:3], off
	v_lshl_add_u64 v[2:3], v[2:3], 0, s[2:3]
	global_load_dwordx2 v[12:13], v[2:3], off
	global_load_dwordx2 v[28:29], v44, s[8:9] offset:64
	v_lshl_add_u64 v[2:3], v[2:3], 0, s[2:3]
	global_load_dwordx2 v[14:15], v[2:3], off
	global_load_dwordx2 v[32:33], v44, s[8:9] offset:80
	;; [unrolled: 3-line block ×3, first 2 shown]
	global_load_dwordx2 v[30:31], v44, s[8:9] offset:112
	v_lshl_add_u64 v[2:3], v[2:3], 0, s[2:3]
	global_load_dwordx2 v[18:19], v[2:3], off
	v_lshl_add_u64 v[2:3], v[2:3], 0, s[2:3]
	global_load_dwordx2 v[46:47], v[2:3], off
	global_load_dwordx2 v[38:39], v44, s[8:9] offset:128
	v_lshl_add_u64 v[2:3], v[2:3], 0, s[2:3]
	global_load_dwordx2 v[48:49], v[2:3], off
	global_load_dwordx2 v[40:41], v44, s[8:9] offset:144
	global_load_dwordx2 v[36:37], v44, s[8:9] offset:160
	v_lshl_add_u64 v[2:3], v[2:3], 0, s[2:3]
	global_load_dwordx2 v[2:3], v[2:3], off
	v_or_b32_e32 v0, v67, v43
	v_lshlrev_b32_e32 v71, 3, v0
	s_load_dwordx4 s[4:7], s[6:7], 0x0
	s_mov_b32 s20, 0xbf0a6770
	s_mov_b32 s12, 0x3f575c64
	;; [unrolled: 1-line block ×12, first 2 shown]
	s_load_dwordx2 s[0:1], s[0:1], 0x38
	v_cmp_eq_u32_e32 vcc, 0, v43
	s_waitcnt vmcnt(20)
	v_mul_f32_e32 v0, v5, v27
	v_mul_f32_e32 v1, v4, v27
	v_fmac_f32_e32 v0, v4, v26
	v_fma_f32 v1, v5, v26, -v1
	s_waitcnt vmcnt(18)
	v_mul_f32_e32 v4, v7, v21
	v_mul_f32_e32 v5, v6, v21
	ds_write_b64 v71, v[0:1]
	s_waitcnt vmcnt(16)
	v_mul_f32_e32 v0, v9, v25
	v_mul_f32_e32 v1, v8, v25
	v_fmac_f32_e32 v4, v6, v20
	v_fma_f32 v5, v7, v20, -v5
	v_fmac_f32_e32 v0, v8, v24
	v_fma_f32 v1, v9, v24, -v1
	s_waitcnt vmcnt(14)
	v_mul_f32_e32 v6, v11, v23
	v_mul_f32_e32 v7, v10, v23
	ds_write2_b64 v70, v[4:5], v[0:1] offset0:2 offset1:4
	s_waitcnt vmcnt(12)
	v_mul_f32_e32 v0, v13, v29
	v_mul_f32_e32 v1, v12, v29
	v_fmac_f32_e32 v6, v10, v22
	v_fma_f32 v7, v11, v22, -v7
	v_fmac_f32_e32 v0, v12, v28
	v_fma_f32 v1, v13, v28, -v1
	s_waitcnt vmcnt(10)
	v_mul_f32_e32 v4, v15, v33
	v_mul_f32_e32 v5, v14, v33
	ds_write2_b64 v70, v[6:7], v[0:1] offset0:6 offset1:8
	;; [unrolled: 11-line block ×4, first 2 shown]
	s_waitcnt vmcnt(0)
	v_mul_f32_e32 v0, v3, v37
	v_mul_f32_e32 v1, v2, v37
	v_fmac_f32_e32 v4, v48, v40
	v_fma_f32 v5, v49, v40, -v5
	v_fmac_f32_e32 v0, v2, v36
	v_fma_f32 v1, v3, v36, -v1
	ds_write2_b64 v70, v[4:5], v[0:1] offset0:18 offset1:20
	s_waitcnt lgkmcnt(0)
	; wave barrier
	s_waitcnt lgkmcnt(0)
	ds_read2_b64 v[4:7], v70 offset0:6 offset1:8
	ds_read2_b64 v[8:11], v70 offset0:14 offset1:16
	ds_read_b64 v[2:3], v71
	ds_read2_b64 v[12:15], v70 offset0:2 offset1:4
	ds_read2_b64 v[16:19], v70 offset0:10 offset1:12
	;; [unrolled: 1-line block ×3, first 2 shown]
	s_waitcnt lgkmcnt(4)
	v_pk_add_f32 v[0:1], v[10:11], v[4:5]
	v_pk_add_f32 v[50:51], v[4:5], v[10:11] neg_lo:[0,1] neg_hi:[0,1]
	s_waitcnt lgkmcnt(2)
	v_pk_add_f32 v[54:55], v[2:3], v[12:13]
	v_pk_add_f32 v[52:53], v[8:9], v[6:7]
	v_pk_add_f32 v[54:55], v[54:55], v[14:15]
	s_waitcnt lgkmcnt(0)
	v_pk_add_f32 v[4:5], v[54:55], v[4:5]
	v_pk_add_f32 v[54:55], v[48:49], v[12:13]
	;; [unrolled: 1-line block ×3, first 2 shown]
	v_pk_add_f32 v[6:7], v[6:7], v[8:9] neg_lo:[0,1] neg_hi:[0,1]
	v_pk_add_f32 v[4:5], v[4:5], v[16:17]
	; wave barrier
	s_nop 0
	v_pk_add_f32 v[4:5], v[4:5], v[18:19]
	s_nop 0
	v_pk_add_f32 v[4:5], v[4:5], v[8:9]
	v_pk_add_f32 v[8:9], v[12:13], v[48:49] neg_lo:[0,1] neg_hi:[0,1]
	v_pk_add_f32 v[4:5], v[4:5], v[10:11]
	v_pk_add_f32 v[10:11], v[46:47], v[14:15]
	v_pk_add_f32 v[12:13], v[14:15], v[46:47] neg_lo:[0,1] neg_hi:[0,1]
	v_pk_mul_f32 v[14:15], v[8:9], s[20:21] op_sel_hi:[1,0]
	v_pk_add_f32 v[4:5], v[4:5], v[46:47]
	v_pk_fma_f32 v[46:47], v[54:55], s[12:13], v[14:15] op_sel:[0,0,1] op_sel_hi:[1,0,0]
	v_pk_add_f32 v[4:5], v[4:5], v[48:49]
	v_pk_fma_f32 v[14:15], v[54:55], s[12:13], v[14:15] op_sel:[0,0,1] op_sel_hi:[1,0,0] neg_lo:[0,0,1] neg_hi:[0,0,1]
	v_pk_add_f32 v[48:49], v[18:19], v[16:17]
	v_pk_add_f32 v[16:17], v[16:17], v[18:19] neg_lo:[0,1] neg_hi:[0,1]
	v_pk_mul_f32 v[18:19], v[12:13], s[28:29] op_sel_hi:[1,0]
	v_mov_b32_e32 v59, v15
	v_pk_fma_f32 v[56:57], v[10:11], s[2:3], v[18:19] op_sel:[0,0,1] op_sel_hi:[1,0,0]
	v_pk_fma_f32 v[18:19], v[10:11], s[2:3], v[18:19] op_sel:[0,0,1] op_sel_hi:[1,0,0] neg_lo:[0,0,1] neg_hi:[0,0,1]
	v_mov_b32_e32 v15, v47
	v_pk_add_f32 v[14:15], v[2:3], v[14:15]
	v_mov_b32_e32 v47, v19
	v_mov_b32_e32 v19, v57
	v_pk_add_f32 v[14:15], v[18:19], v[14:15]
	v_pk_mul_f32 v[18:19], v[50:51], s[16:17] op_sel_hi:[1,0]
	v_pk_mul_f32 v[68:69], v[12:13], s[22:23] op_sel_hi:[1,0]
	v_pk_fma_f32 v[60:61], v[0:1], s[14:15], v[18:19] op_sel:[0,0,1] op_sel_hi:[1,0,0]
	v_pk_fma_f32 v[18:19], v[0:1], s[14:15], v[18:19] op_sel:[0,0,1] op_sel_hi:[1,0,0] neg_lo:[0,0,1] neg_hi:[0,0,1]
	v_pk_fma_f32 v[72:73], v[10:11], s[18:19], v[68:69] op_sel:[0,0,1] op_sel_hi:[1,0,0] neg_lo:[0,0,1] neg_hi:[0,0,1]
	v_mov_b32_e32 v57, v19
	v_mov_b32_e32 v19, v61
	v_pk_add_f32 v[14:15], v[18:19], v[14:15]
	v_pk_mul_f32 v[18:19], v[6:7], s[22:23] op_sel_hi:[1,0]
	v_pk_fma_f32 v[68:69], v[10:11], s[18:19], v[68:69] op_sel:[0,0,1] op_sel_hi:[1,0,0]
	v_pk_fma_f32 v[62:63], v[52:53], s[18:19], v[18:19] op_sel:[0,0,1] op_sel_hi:[1,0,0]
	v_pk_fma_f32 v[18:19], v[52:53], s[18:19], v[18:19] op_sel:[0,0,1] op_sel_hi:[1,0,0] neg_lo:[0,0,1] neg_hi:[0,0,1]
	v_mov_b32_e32 v74, v72
	v_mov_b32_e32 v61, v19
	;; [unrolled: 1-line block ×3, first 2 shown]
	v_pk_add_f32 v[14:15], v[18:19], v[14:15]
	v_pk_mul_f32 v[18:19], v[16:17], s[26:27] op_sel_hi:[1,0]
	v_mov_b32_e32 v75, v69
	v_pk_fma_f32 v[64:65], v[48:49], s[24:25], v[18:19] op_sel:[0,0,1] op_sel_hi:[1,0,0]
	v_pk_fma_f32 v[18:19], v[48:49], s[24:25], v[18:19] op_sel:[0,0,1] op_sel_hi:[1,0,0] neg_lo:[0,0,1] neg_hi:[0,0,1]
	v_pk_mul_f32 v[110:111], v[12:13], s[30:31] op_sel_hi:[1,0]
	v_mov_b32_e32 v63, v19
	v_mov_b32_e32 v19, v65
	v_pk_add_f32 v[14:15], v[18:19], v[14:15]
	v_mul_u32_u24_e32 v18, 11, v43
	v_add_lshl_u32 v66, v67, v18, 3
	ds_write2_b64 v66, v[4:5], v[14:15] offset1:1
	v_pk_mul_f32 v[4:5], v[8:9], s[28:29] op_sel_hi:[1,0]
	s_mov_b32 s28, 0x3e903f40
	v_pk_fma_f32 v[14:15], v[54:55], s[2:3], v[4:5] op_sel:[0,0,1] op_sel_hi:[1,0,0] neg_lo:[0,0,1] neg_hi:[0,0,1]
	v_pk_fma_f32 v[4:5], v[54:55], s[2:3], v[4:5] op_sel:[0,0,1] op_sel_hi:[1,0,0]
	v_mov_b32_e32 v18, v14
	v_mov_b32_e32 v19, v5
	v_pk_add_f32 v[18:19], v[2:3], v[18:19]
	v_pk_mul_f32 v[92:93], v[12:13], s[28:29] op_sel_hi:[1,0]
	v_pk_add_f32 v[18:19], v[74:75], v[18:19]
	v_pk_mul_f32 v[74:75], v[50:51], s[28:29] op_sel_hi:[1,0]
	v_pk_fma_f32 v[94:95], v[10:11], s[24:25], v[92:93] op_sel:[0,0,1] op_sel_hi:[1,0,0] neg_lo:[0,0,1] neg_hi:[0,0,1]
	v_pk_fma_f32 v[76:77], v[0:1], s[24:25], v[74:75] op_sel:[0,0,1] op_sel_hi:[1,0,0] neg_lo:[0,0,1] neg_hi:[0,0,1]
	v_pk_fma_f32 v[74:75], v[0:1], s[24:25], v[74:75] op_sel:[0,0,1] op_sel_hi:[1,0,0]
	v_mov_b32_e32 v78, v76
	v_mov_b32_e32 v79, v75
	v_pk_add_f32 v[18:19], v[78:79], v[18:19]
	v_pk_mul_f32 v[78:79], v[6:7], s[30:31] op_sel_hi:[1,0]
	v_pk_fma_f32 v[92:93], v[10:11], s[24:25], v[92:93] op_sel:[0,0,1] op_sel_hi:[1,0,0]
	v_pk_fma_f32 v[80:81], v[52:53], s[14:15], v[78:79] op_sel:[0,0,1] op_sel_hi:[1,0,0] neg_lo:[0,0,1] neg_hi:[0,0,1]
	v_pk_fma_f32 v[78:79], v[52:53], s[14:15], v[78:79] op_sel:[0,0,1] op_sel_hi:[1,0,0]
	v_mov_b32_e32 v82, v80
	v_mov_b32_e32 v83, v79
	v_pk_add_f32 v[18:19], v[82:83], v[18:19]
	v_pk_mul_f32 v[82:83], v[16:17], s[34:35] op_sel_hi:[1,0]
	v_mov_b32_e32 v96, v94
	v_pk_fma_f32 v[84:85], v[48:49], s[12:13], v[82:83] op_sel:[0,0,1] op_sel_hi:[1,0,0] neg_lo:[0,0,1] neg_hi:[0,0,1]
	v_pk_fma_f32 v[82:83], v[48:49], s[12:13], v[82:83] op_sel:[0,0,1] op_sel_hi:[1,0,0]
	v_mov_b32_e32 v86, v84
	v_mov_b32_e32 v87, v83
	v_pk_add_f32 v[18:19], v[86:87], v[18:19]
	v_pk_mul_f32 v[86:87], v[8:9], s[16:17] op_sel_hi:[1,0]
	v_mov_b32_e32 v97, v93
	v_pk_fma_f32 v[88:89], v[54:55], s[14:15], v[86:87] op_sel:[0,0,1] op_sel_hi:[1,0,0] neg_lo:[0,0,1] neg_hi:[0,0,1]
	v_pk_fma_f32 v[86:87], v[54:55], s[14:15], v[86:87] op_sel:[0,0,1] op_sel_hi:[1,0,0]
	v_mov_b32_e32 v90, v88
	v_mov_b32_e32 v91, v87
	v_pk_add_f32 v[90:91], v[2:3], v[90:91]
	s_mov_b32 s28, 0x3f68dda4
	v_pk_add_f32 v[90:91], v[96:97], v[90:91]
	v_pk_mul_f32 v[96:97], v[50:51], s[28:29] op_sel_hi:[1,0]
	v_pk_fma_f32 v[112:113], v[10:11], s[14:15], v[110:111] op_sel:[0,0,1] op_sel_hi:[1,0,0] neg_lo:[0,0,1] neg_hi:[0,0,1]
	v_pk_fma_f32 v[98:99], v[0:1], s[2:3], v[96:97] op_sel:[0,0,1] op_sel_hi:[1,0,0] neg_lo:[0,0,1] neg_hi:[0,0,1]
	v_pk_fma_f32 v[96:97], v[0:1], s[2:3], v[96:97] op_sel:[0,0,1] op_sel_hi:[1,0,0]
	v_mov_b32_e32 v100, v98
	v_mov_b32_e32 v101, v97
	v_pk_add_f32 v[90:91], v[100:101], v[90:91]
	v_pk_mul_f32 v[100:101], v[6:7], s[20:21] op_sel_hi:[1,0]
	v_pk_fma_f32 v[110:111], v[10:11], s[14:15], v[110:111] op_sel:[0,0,1] op_sel_hi:[1,0,0]
	v_pk_fma_f32 v[102:103], v[52:53], s[12:13], v[100:101] op_sel:[0,0,1] op_sel_hi:[1,0,0] neg_lo:[0,0,1] neg_hi:[0,0,1]
	v_pk_fma_f32 v[100:101], v[52:53], s[12:13], v[100:101] op_sel:[0,0,1] op_sel_hi:[1,0,0]
	v_mov_b32_e32 v104, v102
	v_mov_b32_e32 v105, v101
	v_pk_add_f32 v[90:91], v[104:105], v[90:91]
	v_pk_mul_f32 v[104:105], v[16:17], s[22:23] op_sel_hi:[1,0]
	v_mov_b32_e32 v114, v112
	v_pk_fma_f32 v[106:107], v[48:49], s[18:19], v[104:105] op_sel:[0,0,1] op_sel_hi:[1,0,0] neg_lo:[0,0,1] neg_hi:[0,0,1]
	v_pk_fma_f32 v[104:105], v[48:49], s[18:19], v[104:105] op_sel:[0,0,1] op_sel_hi:[1,0,0]
	v_mov_b32_e32 v108, v106
	v_mov_b32_e32 v109, v105
	v_pk_add_f32 v[90:91], v[108:109], v[90:91]
	ds_write2_b64 v66, v[18:19], v[90:91] offset0:2 offset1:3
	v_pk_mul_f32 v[18:19], v[8:9], s[22:23] op_sel_hi:[1,0]
	v_mov_b32_e32 v115, v111
	v_pk_fma_f32 v[90:91], v[54:55], s[18:19], v[18:19] op_sel:[0,0,1] op_sel_hi:[1,0,0] neg_lo:[0,0,1] neg_hi:[0,0,1]
	v_pk_fma_f32 v[18:19], v[54:55], s[18:19], v[18:19] op_sel:[0,0,1] op_sel_hi:[1,0,0]
	v_mov_b32_e32 v108, v90
	v_mov_b32_e32 v109, v19
	v_pk_add_f32 v[108:109], v[2:3], v[108:109]
	v_pk_mul_f32 v[8:9], v[8:9], s[26:27] op_sel_hi:[1,0]
	v_pk_add_f32 v[108:109], v[114:115], v[108:109]
	v_pk_mul_f32 v[114:115], v[50:51], s[20:21] op_sel_hi:[1,0]
	v_pk_mul_f32 v[12:13], v[12:13], s[34:35] op_sel_hi:[1,0]
	v_pk_fma_f32 v[116:117], v[0:1], s[12:13], v[114:115] op_sel:[0,0,1] op_sel_hi:[1,0,0] neg_lo:[0,0,1] neg_hi:[0,0,1]
	v_pk_fma_f32 v[114:115], v[0:1], s[12:13], v[114:115] op_sel:[0,0,1] op_sel_hi:[1,0,0]
	v_mov_b32_e32 v118, v116
	v_mov_b32_e32 v119, v115
	v_pk_add_f32 v[108:109], v[118:119], v[108:109]
	v_pk_mul_f32 v[118:119], v[6:7], s[26:27] op_sel_hi:[1,0]
	v_pk_mul_f32 v[50:51], v[50:51], s[22:23] op_sel_hi:[1,0]
	v_pk_fma_f32 v[120:121], v[52:53], s[24:25], v[118:119] op_sel:[0,0,1] op_sel_hi:[1,0,0] neg_lo:[0,0,1] neg_hi:[0,0,1]
	v_pk_fma_f32 v[118:119], v[52:53], s[24:25], v[118:119] op_sel:[0,0,1] op_sel_hi:[1,0,0]
	v_mov_b32_e32 v122, v120
	v_mov_b32_e32 v123, v119
	;; [unrolled: 7-line block ×3, first 2 shown]
	v_pk_add_f32 v[108:109], v[126:127], v[108:109]
	v_pk_fma_f32 v[126:127], v[54:55], s[24:25], v[8:9] op_sel:[0,0,1] op_sel_hi:[1,0,0] neg_lo:[0,0,1] neg_hi:[0,0,1]
	v_pk_fma_f32 v[8:9], v[54:55], s[24:25], v[8:9] op_sel:[0,0,1] op_sel_hi:[1,0,0]
	v_pk_fma_f32 v[54:55], v[10:11], s[12:13], v[12:13] op_sel:[0,0,1] op_sel_hi:[1,0,0] neg_lo:[0,0,1] neg_hi:[0,0,1]
	v_pk_fma_f32 v[10:11], v[10:11], s[12:13], v[12:13] op_sel:[0,0,1] op_sel_hi:[1,0,0]
	v_mov_b32_e32 v12, v126
	v_mov_b32_e32 v13, v9
	v_pk_add_f32 v[12:13], v[2:3], v[12:13]
	v_mov_b32_e32 v128, v54
	v_mov_b32_e32 v129, v11
	v_pk_add_f32 v[12:13], v[128:129], v[12:13]
	v_pk_fma_f32 v[128:129], v[0:1], s[18:19], v[50:51] op_sel:[0,0,1] op_sel_hi:[1,0,0] neg_lo:[0,0,1] neg_hi:[0,0,1]
	v_pk_fma_f32 v[0:1], v[0:1], s[18:19], v[50:51] op_sel:[0,0,1] op_sel_hi:[1,0,0]
	v_mov_b32_e32 v9, v127
	v_mov_b32_e32 v50, v128
	;; [unrolled: 1-line block ×4, first 2 shown]
	v_pk_add_f32 v[8:9], v[2:3], v[8:9]
	v_pk_add_f32 v[12:13], v[50:51], v[12:13]
	v_pk_fma_f32 v[50:51], v[52:53], s[2:3], v[6:7] op_sel:[0,0,1] op_sel_hi:[1,0,0] neg_lo:[0,0,1] neg_hi:[0,0,1]
	v_pk_fma_f32 v[6:7], v[52:53], s[2:3], v[6:7] op_sel:[0,0,1] op_sel_hi:[1,0,0]
	v_pk_add_f32 v[8:9], v[10:11], v[8:9]
	v_mov_b32_e32 v1, v129
	v_mov_b32_e32 v53, v7
	v_pk_add_f32 v[0:1], v[0:1], v[8:9]
	v_mov_b32_e32 v7, v51
	v_mov_b32_e32 v19, v91
	v_pk_add_f32 v[0:1], v[6:7], v[0:1]
	v_mov_b32_e32 v111, v113
	v_pk_add_f32 v[6:7], v[2:3], v[18:19]
	v_mov_b32_e32 v52, v50
	v_pk_mul_f32 v[16:17], v[16:17], s[16:17] op_sel_hi:[1,0]
	v_pk_add_f32 v[6:7], v[110:111], v[6:7]
	v_mov_b32_e32 v115, v117
	v_pk_add_f32 v[12:13], v[52:53], v[12:13]
	v_pk_fma_f32 v[52:53], v[48:49], s[14:15], v[16:17] op_sel:[0,0,1] op_sel_hi:[1,0,0] neg_lo:[0,0,1] neg_hi:[0,0,1]
	v_pk_fma_f32 v[16:17], v[48:49], s[14:15], v[16:17] op_sel:[0,0,1] op_sel_hi:[1,0,0]
	v_pk_add_f32 v[6:7], v[114:115], v[6:7]
	v_mov_b32_e32 v119, v121
	v_mov_b32_e32 v49, v17
	;; [unrolled: 1-line block ×3, first 2 shown]
	v_pk_add_f32 v[6:7], v[118:119], v[6:7]
	v_mov_b32_e32 v123, v125
	v_pk_add_f32 v[0:1], v[16:17], v[0:1]
	v_pk_add_f32 v[6:7], v[122:123], v[6:7]
	v_mov_b32_e32 v58, v46
	v_mov_b32_e32 v87, v89
	;; [unrolled: 1-line block ×3, first 2 shown]
	ds_write2_b64 v66, v[0:1], v[6:7] offset0:6 offset1:7
	v_pk_add_f32 v[0:1], v[2:3], v[58:59]
	v_mov_b32_e32 v93, v95
	v_pk_add_f32 v[6:7], v[2:3], v[86:87]
	v_pk_add_f32 v[2:3], v[2:3], v[4:5]
	v_mov_b32_e32 v69, v73
	v_mov_b32_e32 v46, v56
	v_pk_add_f32 v[6:7], v[92:93], v[6:7]
	v_mov_b32_e32 v97, v99
	v_pk_add_f32 v[2:3], v[68:69], v[2:3]
	;; [unrolled: 2-line block ×5, first 2 shown]
	v_mov_b32_e32 v79, v81
	v_mov_b32_e32 v48, v52
	v_pk_add_f32 v[0:1], v[56:57], v[0:1]
	v_mov_b32_e32 v60, v62
	v_pk_add_f32 v[6:7], v[100:101], v[6:7]
	;; [unrolled: 2-line block ×4, first 2 shown]
	v_pk_add_f32 v[0:1], v[60:61], v[0:1]
	v_mov_b32_e32 v62, v64
	v_pk_add_f32 v[6:7], v[104:105], v[6:7]
	v_pk_add_f32 v[2:3], v[82:83], v[2:3]
	ds_write2_b64 v66, v[108:109], v[12:13] offset0:4 offset1:5
	v_pk_add_f32 v[0:1], v[62:63], v[0:1]
	ds_write2_b64 v66, v[6:7], v[2:3] offset0:8 offset1:9
	ds_write_b64 v66, v[0:1] offset:80
	s_waitcnt lgkmcnt(0)
	; wave barrier
	s_waitcnt lgkmcnt(0)
	ds_read2_b64 v[16:19], v70 offset0:11 offset1:13
	ds_read2_b64 v[8:11], v70 offset0:2 offset1:4
	ds_read2_b64 v[4:7], v70 offset0:6 offset1:8
	ds_read2_b64 v[12:15], v70 offset0:15 offset1:17
	ds_read_b64 v[60:61], v71
	ds_read_b64 v[62:63], v70 offset:152
	v_mov_b64_e32 v[46:47], 0
	v_lshlrev_b32_e32 v72, 3, v67
                                        ; implicit-def: $vgpr64
	s_and_saveexec_b64 s[2:3], vcc
	s_cbranch_execz .LBB0_3
; %bb.2:
	ds_read2_b64 v[0:3], v72 offset0:10 offset1:21
	v_mov_b64_e32 v[46:47], 10
	s_waitcnt lgkmcnt(0)
	v_mov_b32_e32 v64, v3
.LBB0_3:
	s_or_b64 exec, exec, s[2:3]
	v_lshlrev_b32_e32 v3, 3, v46
	global_load_dwordx2 v[56:57], v44, s[10:11]
	global_load_dwordx2 v[54:55], v44, s[10:11] offset:16
	global_load_dwordx2 v[52:53], v44, s[10:11] offset:32
	;; [unrolled: 1-line block ×4, first 2 shown]
	global_load_dwordx2 v[46:47], v3, s[10:11]
	v_lshl_add_u64 v[58:59], s[8:9], 0, v[44:45]
	s_waitcnt vmcnt(5) lgkmcnt(5)
	v_pk_mul_f32 v[68:69], v[16:17], v[56:57] op_sel:[0,1]
	s_waitcnt vmcnt(4)
	v_pk_mul_f32 v[74:75], v[18:19], v[54:55] op_sel:[0,1]
	s_waitcnt vmcnt(3) lgkmcnt(2)
	v_pk_mul_f32 v[76:77], v[12:13], v[52:53] op_sel:[0,1]
	s_waitcnt vmcnt(2)
	v_pk_mul_f32 v[78:79], v[14:15], v[50:51] op_sel:[0,1]
	s_waitcnt vmcnt(1) lgkmcnt(0)
	v_pk_mul_f32 v[80:81], v[62:63], v[48:49] op_sel:[0,1]
	s_waitcnt vmcnt(0)
	v_pk_mul_f32 v[64:65], v[64:65], v[46:47] op_sel_hi:[0,1]
	v_pk_fma_f32 v[82:83], v[16:17], v[56:57], v[68:69] op_sel:[0,0,1] op_sel_hi:[1,1,0] neg_lo:[0,0,1] neg_hi:[0,0,1]
	v_pk_fma_f32 v[16:17], v[16:17], v[56:57], v[68:69] op_sel:[0,0,1] op_sel_hi:[1,0,0]
	v_pk_fma_f32 v[68:69], v[18:19], v[54:55], v[74:75] op_sel:[0,0,1] op_sel_hi:[1,1,0] neg_lo:[0,0,1] neg_hi:[0,0,1]
	v_pk_fma_f32 v[18:19], v[18:19], v[54:55], v[74:75] op_sel:[0,0,1] op_sel_hi:[1,0,0]
	;; [unrolled: 2-line block ×6, first 2 shown]
	v_mov_b32_e32 v83, v17
	v_mov_b32_e32 v69, v19
	;; [unrolled: 1-line block ×6, first 2 shown]
	v_pk_add_f32 v[2:3], v[60:61], v[82:83] neg_lo:[0,1] neg_hi:[0,1]
	v_pk_add_f32 v[12:13], v[8:9], v[68:69] neg_lo:[0,1] neg_hi:[0,1]
	v_pk_add_f32 v[14:15], v[10:11], v[74:75] neg_lo:[0,1] neg_hi:[0,1]
	v_pk_add_f32 v[18:19], v[4:5], v[76:77] neg_lo:[0,1] neg_hi:[0,1]
	v_pk_add_f32 v[62:63], v[6:7], v[78:79] neg_lo:[0,1] neg_hi:[0,1]
	v_pk_add_f32 v[16:17], v[0:1], v[80:81] neg_lo:[0,1] neg_hi:[0,1]
	v_pk_fma_f32 v[60:61], v[60:61], 2.0, v[2:3] op_sel_hi:[1,0,1] neg_lo:[0,0,1] neg_hi:[0,0,1]
	v_pk_fma_f32 v[8:9], v[8:9], 2.0, v[12:13] op_sel_hi:[1,0,1] neg_lo:[0,0,1] neg_hi:[0,0,1]
	;; [unrolled: 1-line block ×5, first 2 shown]
	ds_write_b64 v71, v[60:61]
	ds_write2_b64 v70, v[2:3], v[12:13] offset0:11 offset1:13
	ds_write2_b64 v70, v[8:9], v[10:11] offset0:2 offset1:4
	;; [unrolled: 1-line block ×4, first 2 shown]
	ds_write_b64 v70, v[62:63] offset:152
	s_and_saveexec_b64 s[2:3], vcc
	s_cbranch_execz .LBB0_5
; %bb.4:
	v_pk_fma_f32 v[0:1], v[0:1], 2.0, v[16:17] op_sel_hi:[1,0,1] neg_lo:[0,0,1] neg_hi:[0,0,1]
	ds_write2_b64 v72, v[0:1], v[16:17] offset0:10 offset1:21
.LBB0_5:
	s_or_b64 exec, exec, s[2:3]
	s_waitcnt lgkmcnt(0)
	; wave barrier
	s_waitcnt lgkmcnt(0)
	global_load_dwordx2 v[0:1], v[58:59], off offset:176
	s_add_u32 s2, s8, 0xb0
	s_addc_u32 s3, s9, 0
	global_load_dwordx2 v[64:65], v44, s[2:3] offset:16
	global_load_dwordx2 v[68:69], v44, s[2:3] offset:32
	;; [unrolled: 1-line block ×10, first 2 shown]
	ds_read_b64 v[2:3], v71
	v_add_u32_e32 v73, v72, v44
	v_mov_b32_e32 v18, v50
	v_mov_b32_e32 v19, v50
	s_mov_b32 s20, 0xbf0a6770
	s_mov_b32 s24, 0xbf68dda4
	;; [unrolled: 1-line block ×15, first 2 shown]
	v_mov_b32_e32 v62, v56
	v_mov_b32_e32 v63, v56
	;; [unrolled: 1-line block ×9, first 2 shown]
	s_waitcnt vmcnt(10) lgkmcnt(0)
	v_mul_f32_e32 v4, v3, v1
	v_mul_f32_e32 v5, v2, v1
	v_fma_f32 v4, v2, v0, -v4
	v_fmac_f32_e32 v5, v3, v0
	ds_write_b64 v71, v[4:5]
	ds_read2_b64 v[0:3], v70 offset0:2 offset1:4
	ds_read2_b64 v[4:7], v70 offset0:6 offset1:8
	;; [unrolled: 1-line block ×4, first 2 shown]
	ds_read_b64 v[44:45], v73 offset:80
	ds_read_b64 v[90:91], v70 offset:160
	s_waitcnt vmcnt(9) lgkmcnt(5)
	v_mul_f32_e32 v50, v1, v65
	v_mul_f32_e32 v93, v0, v65
	s_waitcnt vmcnt(8)
	v_mul_f32_e32 v67, v3, v69
	v_mul_f32_e32 v65, v2, v69
	s_waitcnt vmcnt(7) lgkmcnt(4)
	v_mul_f32_e32 v94, v5, v75
	v_mul_f32_e32 v69, v4, v75
	s_waitcnt vmcnt(6)
	v_mul_f32_e32 v95, v7, v77
	v_mul_f32_e32 v75, v6, v77
	;; [unrolled: 6-line block ×3, first 2 shown]
	s_waitcnt vmcnt(3)
	v_mul_f32_e32 v98, v11, v83
	v_mul_f32_e32 v81, v10, v83
	s_waitcnt vmcnt(2)
	v_mul_f32_e32 v99, v13, v85
	v_mul_f32_e32 v83, v12, v85
	s_waitcnt vmcnt(1)
	v_mul_f32_e32 v100, v15, v87
	v_mul_f32_e32 v85, v14, v87
	s_waitcnt vmcnt(0) lgkmcnt(0)
	v_mul_f32_e32 v101, v91, v89
	v_mul_f32_e32 v87, v90, v89
	v_fma_f32 v92, v0, v64, -v50
	v_fmac_f32_e32 v93, v1, v64
	v_fma_f32 v64, v2, v68, -v67
	v_fmac_f32_e32 v65, v3, v68
	;; [unrolled: 2-line block ×10, first 2 shown]
	ds_write2_b64 v70, v[92:93], v[64:65] offset0:2 offset1:4
	ds_write2_b64 v70, v[68:69], v[74:75] offset0:6 offset1:8
	ds_write_b64 v73, v[76:77] offset:80
	ds_write2_b64 v70, v[78:79], v[80:81] offset0:12 offset1:14
	ds_write2_b64 v70, v[82:83], v[84:85] offset0:16 offset1:18
	ds_write_b64 v70, v[86:87] offset:160
	s_waitcnt lgkmcnt(0)
	; wave barrier
	s_waitcnt lgkmcnt(0)
	ds_read_b64 v[0:1], v71
	ds_read2_b64 v[4:7], v70 offset0:2 offset1:4
	ds_read2_b64 v[12:15], v70 offset0:6 offset1:8
	;; [unrolled: 1-line block ×4, first 2 shown]
	ds_read_b64 v[44:45], v73 offset:80
	ds_read_b64 v[2:3], v70 offset:160
	s_waitcnt lgkmcnt(5)
	v_pk_add_f32 v[8:9], v[0:1], v[4:5]
	s_waitcnt lgkmcnt(3)
	v_pk_add_f32 v[96:97], v[76:77], v[14:15]
	v_pk_add_f32 v[8:9], v[8:9], v[6:7]
	s_waitcnt lgkmcnt(2)
	v_pk_add_f32 v[88:89], v[80:81], v[6:7]
	;; [unrolled: 3-line block ×3, first 2 shown]
	v_pk_add_f32 v[8:9], v[8:9], v[14:15]
	v_pk_add_f32 v[84:85], v[4:5], v[2:3] neg_lo:[0,1] neg_hi:[0,1]
	v_pk_add_f32 v[8:9], v[8:9], v[44:45]
	v_pk_add_f32 v[100:101], v[74:75], v[44:45]
	;; [unrolled: 1-line block ×3, first 2 shown]
	v_pk_add_f32 v[74:75], v[44:45], v[74:75] neg_lo:[0,1] neg_hi:[0,1]
	v_pk_add_f32 v[8:9], v[8:9], v[76:77]
	v_mov_b32_e32 v44, v82
	v_pk_add_f32 v[8:9], v[8:9], v[78:79]
	v_mov_b32_e32 v45, v84
	v_pk_add_f32 v[8:9], v[8:9], v[80:81]
	v_pk_add_f32 v[80:81], v[6:7], v[80:81] neg_lo:[0,1] neg_hi:[0,1]
	v_pk_add_f32 v[68:69], v[8:9], v[2:3]
	v_pk_mul_f32 v[2:3], v[84:85], s[24:25] op_sel_hi:[1,0]
	v_mov_b32_e32 v102, v85
	v_pk_fma_f32 v[4:5], v[82:83], s[2:3], v[2:3] op_sel:[0,0,1] op_sel_hi:[1,0,0]
	v_pk_fma_f32 v[2:3], v[82:83], s[2:3], v[2:3] op_sel:[0,0,1] op_sel_hi:[1,0,0] neg_lo:[0,0,1] neg_hi:[0,0,1]
	v_mov_b32_e32 v103, v83
	v_pk_mul_f32 v[104:105], v[44:45], s[16:17]
	v_mov_b32_e32 v110, v88
	v_mov_b32_e32 v111, v80
	s_mov_b32 s3, s24
	v_pk_fma_f32 v[44:45], v[102:103], s[20:21], v[104:105] neg_lo:[1,0,0] neg_hi:[1,0,0]
	v_pk_fma_f32 v[106:107], v[102:103], s[20:21], v[104:105]
	v_mov_b32_e32 v108, v81
	v_mov_b32_e32 v109, v89
	s_mov_b32 s25, s2
	v_pk_mul_f32 v[110:111], v[110:111], s[2:3]
	v_pk_mul_f32 v[6:7], v[80:81], s[10:11] op_sel_hi:[1,0]
	v_pk_add_f32 v[76:77], v[14:15], v[76:77] neg_lo:[0,1] neg_hi:[0,1]
	v_mov_b32_e32 v45, v107
	v_pk_fma_f32 v[112:113], v[108:109], s[24:25], v[110:111] neg_lo:[1,0,0] neg_hi:[1,0,0]
	v_pk_fma_f32 v[114:115], v[108:109], s[24:25], v[110:111]
	v_mov_b32_e32 v86, v4
	v_mov_b32_e32 v87, v3
	v_pk_fma_f32 v[8:9], v[88:89], s[8:9], v[6:7] op_sel:[0,0,1] op_sel_hi:[1,0,0]
	v_pk_fma_f32 v[6:7], v[88:89], s[8:9], v[6:7] op_sel:[0,0,1] op_sel_hi:[1,0,0] neg_lo:[0,0,1] neg_hi:[0,0,1]
	v_pk_add_f32 v[92:93], v[78:79], v[12:13]
	v_pk_add_f32 v[78:79], v[12:13], v[78:79] neg_lo:[0,1] neg_hi:[0,1]
	v_pk_mul_f32 v[14:15], v[76:77], s[18:19] op_sel_hi:[1,0]
	v_pk_add_f32 v[44:45], v[0:1], v[44:45]
	v_mov_b32_e32 v113, v115
	s_mov_b32 s16, 0xbf7d64f0
	v_mov_b32_e32 v90, v8
	v_mov_b32_e32 v91, v7
	v_pk_fma_f32 v[64:65], v[96:97], s[12:13], v[14:15] op_sel:[0,0,1] op_sel_hi:[1,0,0]
	v_pk_fma_f32 v[14:15], v[96:97], s[12:13], v[14:15] op_sel:[0,0,1] op_sel_hi:[1,0,0] neg_lo:[0,0,1] neg_hi:[0,0,1]
	v_pk_add_f32 v[86:87], v[0:1], v[86:87]
	v_pk_add_f32 v[44:45], v[112:113], v[44:45]
	v_mov_b32_e32 v112, v92
	v_mov_b32_e32 v113, v78
	s_mov_b32 s13, s16
	v_pk_add_f32 v[86:87], v[90:91], v[86:87]
	v_mov_b32_e32 v90, v79
	v_mov_b32_e32 v91, v93
	s_mov_b32 s17, s12
	v_pk_mul_f32 v[112:113], v[112:113], s[12:13]
	v_pk_mul_f32 v[10:11], v[78:79], s[22:23] op_sel_hi:[1,0]
	v_pk_fma_f32 v[116:117], v[90:91], s[16:17], v[112:113] neg_lo:[1,0,0] neg_hi:[1,0,0]
	v_pk_fma_f32 v[118:119], v[90:91], s[16:17], v[112:113]
	v_pk_fma_f32 v[12:13], v[92:93], s[14:15], v[10:11] op_sel:[0,0,1] op_sel_hi:[1,0,0]
	v_pk_fma_f32 v[10:11], v[92:93], s[14:15], v[10:11] op_sel:[0,0,1] op_sel_hi:[1,0,0] neg_lo:[0,0,1] neg_hi:[0,0,1]
	v_mov_b32_e32 v117, v119
	v_mov_b32_e32 v94, v12
	;; [unrolled: 1-line block ×3, first 2 shown]
	v_pk_add_f32 v[44:45], v[116:117], v[44:45]
	v_mov_b32_e32 v116, v96
	v_mov_b32_e32 v117, v76
	s_mov_b32 s9, s10
	v_pk_add_f32 v[86:87], v[94:95], v[86:87]
	v_mov_b32_e32 v94, v77
	v_mov_b32_e32 v95, v97
	s_mov_b32 s11, s8
	v_pk_mul_f32 v[116:117], v[116:117], s[8:9]
	v_pk_fma_f32 v[102:103], v[102:103], s[20:21], v[104:105] neg_lo:[0,0,1] neg_hi:[0,0,1]
	v_pk_fma_f32 v[120:121], v[94:95], s[10:11], v[116:117] neg_lo:[1,0,0] neg_hi:[1,0,0]
	v_pk_fma_f32 v[122:123], v[94:95], s[10:11], v[116:117]
	v_mov_b32_e32 v107, v103
	v_mov_b32_e32 v121, v123
	v_pk_fma_f32 v[104:105], v[108:109], s[24:25], v[110:111] neg_lo:[0,0,1] neg_hi:[0,0,1]
	v_mov_b32_e32 v98, v64
	v_mov_b32_e32 v99, v15
	v_pk_add_f32 v[44:45], v[120:121], v[44:45]
	v_mov_b32_e32 v120, v100
	v_mov_b32_e32 v121, v74
	s_mov_b32 s15, s26
	v_pk_add_f32 v[102:103], v[0:1], v[106:107]
	v_mov_b32_e32 v115, v105
	v_pk_fma_f32 v[90:91], v[90:91], s[16:17], v[112:113] neg_lo:[0,0,1] neg_hi:[0,0,1]
	v_pk_add_f32 v[86:87], v[98:99], v[86:87]
	v_mov_b32_e32 v98, v75
	v_mov_b32_e32 v99, v101
	v_pk_mul_f32 v[120:121], v[120:121], s[14:15]
	v_pk_add_f32 v[102:103], v[114:115], v[102:103]
	v_mov_b32_e32 v119, v91
	v_pk_fma_f32 v[94:95], v[94:95], s[10:11], v[116:117] neg_lo:[0,0,1] neg_hi:[0,0,1]
	v_pk_fma_f32 v[124:125], v[98:99], s[26:27], v[120:121] neg_lo:[1,0,0] neg_hi:[1,0,0]
	v_pk_fma_f32 v[126:127], v[98:99], s[26:27], v[120:121]
	v_pk_add_f32 v[90:91], v[118:119], v[102:103]
	v_mov_b32_e32 v123, v95
	v_pk_fma_f32 v[94:95], v[98:99], s[26:27], v[120:121] neg_lo:[0,0,1] neg_hi:[0,0,1]
	v_mov_b32_e32 v125, v127
	v_pk_add_f32 v[90:91], v[122:123], v[90:91]
	v_mov_b32_e32 v127, v95
	v_pk_add_f32 v[90:91], v[126:127], v[90:91]
	s_waitcnt lgkmcnt(0)
	; wave barrier
	ds_write2_b64 v66, v[68:69], v[90:91] offset1:1
	v_pk_mul_f32 v[68:69], v[84:85], s[16:17] op_sel_hi:[1,0]
	v_pk_mul_f32 v[98:99], v[80:81], s[22:23] op_sel_hi:[1,0]
	v_pk_fma_f32 v[90:91], v[82:83], s[12:13], v[68:69] op_sel:[0,0,1] op_sel_hi:[1,0,0]
	v_pk_fma_f32 v[68:69], v[82:83], s[12:13], v[68:69] op_sel:[0,0,1] op_sel_hi:[1,0,0] neg_lo:[0,0,1] neg_hi:[0,0,1]
	s_mov_b32 s22, 0x3f68dda4
	v_mov_b32_e32 v94, v90
	v_mov_b32_e32 v95, v69
	v_pk_fma_f32 v[102:103], v[88:89], s[14:15], v[98:99] op_sel:[0,0,1] op_sel_hi:[1,0,0]
	v_pk_fma_f32 v[98:99], v[88:89], s[14:15], v[98:99] op_sel:[0,0,1] op_sel_hi:[1,0,0] neg_lo:[0,0,1] neg_hi:[0,0,1]
	v_pk_mul_f32 v[106:107], v[78:79], s[22:23] op_sel_hi:[1,0]
	v_mov_b32_e32 v104, v102
	v_mov_b32_e32 v105, v99
	v_pk_fma_f32 v[108:109], v[92:93], s[2:3], v[106:107] op_sel:[0,0,1] op_sel_hi:[1,0,0]
	v_pk_fma_f32 v[106:107], v[92:93], s[2:3], v[106:107] op_sel:[0,0,1] op_sel_hi:[1,0,0] neg_lo:[0,0,1] neg_hi:[0,0,1]
	v_pk_mul_f32 v[112:113], v[76:77], s[20:21] op_sel_hi:[1,0]
	v_pk_add_f32 v[94:95], v[0:1], v[94:95]
	v_pk_add_f32 v[44:45], v[124:125], v[44:45]
	v_pk_mul_f32 v[124:125], v[74:75], s[30:31] op_sel_hi:[1,0]
	v_mov_b32_e32 v110, v108
	v_mov_b32_e32 v111, v107
	v_pk_fma_f32 v[114:115], v[96:97], s[28:29], v[112:113] op_sel:[0,0,1] op_sel_hi:[1,0,0]
	v_pk_fma_f32 v[112:113], v[96:97], s[28:29], v[112:113] op_sel:[0,0,1] op_sel_hi:[1,0,0] neg_lo:[0,0,1] neg_hi:[0,0,1]
	v_pk_add_f32 v[94:95], v[104:105], v[94:95]
	v_pk_mul_f32 v[104:105], v[74:75], s[10:11] op_sel_hi:[1,0]
	v_pk_fma_f32 v[128:129], v[100:101], s[28:29], v[124:125] op_sel:[0,0,1] op_sel_hi:[1,0,0]
	v_pk_fma_f32 v[124:125], v[100:101], s[28:29], v[124:125] op_sel:[0,0,1] op_sel_hi:[1,0,0] neg_lo:[0,0,1] neg_hi:[0,0,1]
	v_mov_b32_e32 v116, v114
	v_mov_b32_e32 v117, v113
	v_pk_add_f32 v[94:95], v[110:111], v[94:95]
	v_pk_fma_f32 v[110:111], v[100:101], s[8:9], v[104:105] op_sel:[0,0,1] op_sel_hi:[1,0,0]
	v_pk_fma_f32 v[104:105], v[100:101], s[8:9], v[104:105] op_sel:[0,0,1] op_sel_hi:[1,0,0] neg_lo:[0,0,1] neg_hi:[0,0,1]
	v_mov_b32_e32 v130, v128
	v_mov_b32_e32 v131, v125
	v_pk_add_f32 v[94:95], v[116:117], v[94:95]
	v_mov_b32_e32 v116, v110
	v_mov_b32_e32 v117, v105
	v_pk_add_f32 v[86:87], v[130:131], v[86:87]
	v_pk_add_f32 v[94:95], v[116:117], v[94:95]
	ds_write2_b64 v66, v[86:87], v[94:95] offset0:2 offset1:3
	v_pk_mul_f32 v[86:87], v[84:85], s[10:11] op_sel_hi:[1,0]
	v_pk_mul_f32 v[118:119], v[80:81], s[18:19] op_sel_hi:[1,0]
	v_pk_fma_f32 v[94:95], v[82:83], s[8:9], v[86:87] op_sel:[0,0,1] op_sel_hi:[1,0,0]
	v_pk_fma_f32 v[86:87], v[82:83], s[8:9], v[86:87] op_sel:[0,0,1] op_sel_hi:[1,0,0] neg_lo:[0,0,1] neg_hi:[0,0,1]
	v_mov_b32_e32 v116, v94
	v_mov_b32_e32 v117, v87
	v_pk_fma_f32 v[120:121], v[88:89], s[12:13], v[118:119] op_sel:[0,0,1] op_sel_hi:[1,0,0]
	v_pk_fma_f32 v[118:119], v[88:89], s[12:13], v[118:119] op_sel:[0,0,1] op_sel_hi:[1,0,0] neg_lo:[0,0,1] neg_hi:[0,0,1]
	v_pk_mul_f32 v[126:127], v[78:79], s[20:21] op_sel_hi:[1,0]
	v_mov_b32_e32 v122, v120
	v_mov_b32_e32 v123, v119
	v_pk_fma_f32 v[130:131], v[92:93], s[28:29], v[126:127] op_sel:[0,0,1] op_sel_hi:[1,0,0]
	v_pk_fma_f32 v[126:127], v[92:93], s[28:29], v[126:127] op_sel:[0,0,1] op_sel_hi:[1,0,0] neg_lo:[0,0,1] neg_hi:[0,0,1]
	v_pk_mul_f32 v[134:135], v[76:77], s[26:27] op_sel_hi:[1,0]
	v_pk_add_f32 v[116:117], v[0:1], v[116:117]
	v_mov_b32_e32 v132, v130
	v_mov_b32_e32 v133, v127
	v_pk_fma_f32 v[136:137], v[96:97], s[14:15], v[134:135] op_sel:[0,0,1] op_sel_hi:[1,0,0]
	v_pk_fma_f32 v[134:135], v[96:97], s[14:15], v[134:135] op_sel:[0,0,1] op_sel_hi:[1,0,0] neg_lo:[0,0,1] neg_hi:[0,0,1]
	v_pk_add_f32 v[116:117], v[122:123], v[116:117]
	v_pk_mul_f32 v[122:123], v[74:75], s[22:23] op_sel_hi:[1,0]
	v_mov_b32_e32 v138, v136
	v_mov_b32_e32 v139, v135
	v_pk_add_f32 v[116:117], v[132:133], v[116:117]
	v_pk_fma_f32 v[132:133], v[100:101], s[2:3], v[122:123] op_sel:[0,0,1] op_sel_hi:[1,0,0]
	v_pk_fma_f32 v[122:123], v[100:101], s[2:3], v[122:123] op_sel:[0,0,1] op_sel_hi:[1,0,0] neg_lo:[0,0,1] neg_hi:[0,0,1]
	v_pk_add_f32 v[116:117], v[138:139], v[116:117]
	v_mov_b32_e32 v138, v132
	v_mov_b32_e32 v139, v123
	v_pk_mul_f32 v[84:85], v[84:85], s[26:27] op_sel_hi:[1,0]
	v_pk_add_f32 v[116:117], v[138:139], v[116:117]
	v_pk_fma_f32 v[138:139], v[82:83], s[14:15], v[84:85] op_sel:[0,0,1] op_sel_hi:[1,0,0]
	v_pk_fma_f32 v[82:83], v[82:83], s[14:15], v[84:85] op_sel:[0,0,1] op_sel_hi:[1,0,0] neg_lo:[0,0,1] neg_hi:[0,0,1]
	v_pk_mul_f32 v[80:81], v[80:81], s[30:31] op_sel_hi:[1,0]
	v_mov_b32_e32 v85, v83
	v_pk_fma_f32 v[140:141], v[88:89], s[28:29], v[80:81] op_sel:[0,0,1] op_sel_hi:[1,0,0]
	v_pk_fma_f32 v[80:81], v[88:89], s[28:29], v[80:81] op_sel:[0,0,1] op_sel_hi:[1,0,0] neg_lo:[0,0,1] neg_hi:[0,0,1]
	v_pk_mul_f32 v[78:79], v[78:79], s[10:11] op_sel_hi:[1,0]
	v_mov_b32_e32 v83, v139
	v_mov_b32_e32 v84, v138
	v_mov_b32_e32 v89, v81
	v_pk_fma_f32 v[142:143], v[92:93], s[8:9], v[78:79] op_sel:[0,0,1] op_sel_hi:[1,0,0]
	v_pk_fma_f32 v[78:79], v[92:93], s[8:9], v[78:79] op_sel:[0,0,1] op_sel_hi:[1,0,0] neg_lo:[0,0,1] neg_hi:[0,0,1]
	v_pk_mul_f32 v[76:77], v[76:77], s[22:23] op_sel_hi:[1,0]
	v_mov_b32_e32 v81, v141
	v_pk_add_f32 v[82:83], v[0:1], v[82:83]
	v_mov_b32_e32 v88, v140
	v_mov_b32_e32 v93, v79
	v_pk_fma_f32 v[144:145], v[96:97], s[2:3], v[76:77] op_sel:[0,0,1] op_sel_hi:[1,0,0]
	v_pk_fma_f32 v[76:77], v[96:97], s[2:3], v[76:77] op_sel:[0,0,1] op_sel_hi:[1,0,0] neg_lo:[0,0,1] neg_hi:[0,0,1]
	v_pk_add_f32 v[84:85], v[0:1], v[84:85]
	v_pk_mul_f32 v[74:75], v[74:75], s[16:17] op_sel_hi:[1,0]
	v_mov_b32_e32 v79, v143
	v_pk_add_f32 v[80:81], v[80:81], v[82:83]
	v_mov_b32_e32 v92, v142
	v_mov_b32_e32 v97, v77
	v_pk_add_f32 v[84:85], v[88:89], v[84:85]
	v_pk_fma_f32 v[88:89], v[100:101], s[12:13], v[74:75] op_sel:[0,0,1] op_sel_hi:[1,0,0]
	v_pk_fma_f32 v[74:75], v[100:101], s[12:13], v[74:75] op_sel:[0,0,1] op_sel_hi:[1,0,0] neg_lo:[0,0,1] neg_hi:[0,0,1]
	v_mov_b32_e32 v77, v145
	v_pk_add_f32 v[78:79], v[78:79], v[80:81]
	v_pk_add_f32 v[84:85], v[92:93], v[84:85]
	v_mov_b32_e32 v93, v75
	v_pk_add_f32 v[76:77], v[76:77], v[78:79]
	v_mov_b32_e32 v75, v89
	v_mov_b32_e32 v87, v95
	;; [unrolled: 1-line block ×4, first 2 shown]
	v_pk_add_f32 v[74:75], v[74:75], v[76:77]
	v_mov_b32_e32 v119, v121
	v_pk_add_f32 v[76:77], v[0:1], v[86:87]
	v_mov_b32_e32 v99, v103
	;; [unrolled: 2-line block ×7, first 2 shown]
	v_mov_b32_e32 v135, v137
	v_pk_add_f32 v[76:77], v[126:127], v[76:77]
	v_mov_b32_e32 v113, v115
	v_pk_add_f32 v[68:69], v[106:107], v[68:69]
	;; [unrolled: 2-line block ×3, first 2 shown]
	v_pk_add_f32 v[84:85], v[96:97], v[84:85]
	v_mov_b32_e32 v92, v88
	v_pk_add_f32 v[76:77], v[134:135], v[76:77]
	v_mov_b32_e32 v123, v133
	;; [unrolled: 2-line block ×4, first 2 shown]
	v_pk_add_f32 v[84:85], v[92:93], v[84:85]
	v_pk_add_f32 v[76:77], v[122:123], v[76:77]
	;; [unrolled: 1-line block ×4, first 2 shown]
	ds_write2_b64 v66, v[116:117], v[84:85] offset0:4 offset1:5
	ds_write2_b64 v66, v[74:75], v[76:77] offset0:6 offset1:7
	;; [unrolled: 1-line block ×3, first 2 shown]
	ds_write_b64 v66, v[44:45] offset:80
	s_waitcnt lgkmcnt(0)
	; wave barrier
	s_waitcnt lgkmcnt(0)
	ds_read2_b64 v[12:15], v70 offset0:11 offset1:13
	ds_read2_b64 v[8:11], v70 offset0:2 offset1:4
	;; [unrolled: 1-line block ×4, first 2 shown]
	ds_read_b64 v[68:69], v71
	ds_read_b64 v[64:65], v70 offset:152
	v_mov_b32_e32 v50, v51
	v_mov_b32_e32 v66, v48
	;; [unrolled: 1-line block ×4, first 2 shown]
	s_and_saveexec_b64 s[2:3], vcc
	s_cbranch_execz .LBB0_7
; %bb.6:
	ds_read_b64 v[44:45], v73 offset:80
	ds_read_b64 v[16:17], v72 offset:168
.LBB0_7:
	s_or_b64 exec, exec, s[2:3]
	s_waitcnt lgkmcnt(5)
	v_pk_mul_f32 v[56:57], v[56:57], v[12:13]
	v_pk_mul_f32 v[54:55], v[54:55], v[14:15]
	v_pk_fma_f32 v[74:75], v[62:63], v[12:13], v[56:57] op_sel:[0,0,1] op_sel_hi:[1,1,0]
	v_pk_fma_f32 v[12:13], v[62:63], v[12:13], v[56:57] op_sel:[0,0,1] op_sel_hi:[1,1,0] neg_lo:[0,0,1] neg_hi:[0,0,1]
	s_waitcnt lgkmcnt(2)
	v_pk_mul_f32 v[52:53], v[52:53], v[4:5]
	v_mov_b32_e32 v75, v13
	s_waitcnt lgkmcnt(1)
	v_pk_add_f32 v[12:13], v[68:69], v[74:75] neg_lo:[0,1] neg_hi:[0,1]
	v_pk_mul_f32 v[50:51], v[50:51], v[6:7]
	v_pk_fma_f32 v[56:57], v[68:69], 2.0, v[12:13] op_sel_hi:[1,0,1] neg_lo:[0,0,1] neg_hi:[0,0,1]
	ds_write_b64 v71, v[56:57]
	v_pk_fma_f32 v[56:57], v[60:61], v[14:15], v[54:55] op_sel:[0,0,1] op_sel_hi:[1,1,0]
	v_pk_fma_f32 v[14:15], v[60:61], v[14:15], v[54:55] op_sel:[0,0,1] op_sel_hi:[1,1,0] neg_lo:[0,0,1] neg_hi:[0,0,1]
	s_waitcnt lgkmcnt(1)
	v_pk_mul_f32 v[48:49], v[48:49], v[64:65]
	v_mov_b32_e32 v57, v15
	v_pk_add_f32 v[14:15], v[8:9], v[56:57] neg_lo:[0,1] neg_hi:[0,1]
	ds_write2_b64 v70, v[12:13], v[14:15] offset0:11 offset1:13
	v_pk_fma_f32 v[12:13], v[58:59], v[4:5], v[52:53] op_sel:[0,0,1] op_sel_hi:[1,1,0]
	v_pk_fma_f32 v[4:5], v[58:59], v[4:5], v[52:53] op_sel:[0,0,1] op_sel_hi:[1,1,0] neg_lo:[0,0,1] neg_hi:[0,0,1]
	v_pk_fma_f32 v[8:9], v[8:9], 2.0, v[14:15] op_sel_hi:[1,0,1] neg_lo:[0,0,1] neg_hi:[0,0,1]
	v_mov_b32_e32 v13, v5
	v_pk_add_f32 v[4:5], v[10:11], v[12:13] neg_lo:[0,1] neg_hi:[0,1]
	s_nop 0
	v_pk_fma_f32 v[10:11], v[10:11], 2.0, v[4:5] op_sel_hi:[1,0,1] neg_lo:[0,0,1] neg_hi:[0,0,1]
	ds_write2_b64 v70, v[8:9], v[10:11] offset0:2 offset1:4
	v_pk_fma_f32 v[8:9], v[18:19], v[6:7], v[50:51] op_sel:[0,0,1] op_sel_hi:[1,1,0]
	v_pk_fma_f32 v[6:7], v[18:19], v[6:7], v[50:51] op_sel:[0,0,1] op_sel_hi:[1,1,0] neg_lo:[0,0,1] neg_hi:[0,0,1]
	s_nop 0
	v_mov_b32_e32 v9, v7
	v_pk_add_f32 v[6:7], v[0:1], v[8:9] neg_lo:[0,1] neg_hi:[0,1]
	ds_write2_b64 v70, v[4:5], v[6:7] offset0:15 offset1:17
	v_pk_fma_f32 v[0:1], v[0:1], 2.0, v[6:7] op_sel_hi:[1,0,1] neg_lo:[0,0,1] neg_hi:[0,0,1]
	v_pk_fma_f32 v[4:5], v[66:67], v[64:65], v[48:49] op_sel:[0,0,1] op_sel_hi:[1,1,0]
	v_pk_fma_f32 v[6:7], v[66:67], v[64:65], v[48:49] op_sel:[0,0,1] op_sel_hi:[1,1,0] neg_lo:[0,0,1] neg_hi:[0,0,1]
	s_nop 0
	v_mov_b32_e32 v5, v7
	v_pk_add_f32 v[4:5], v[2:3], v[4:5] neg_lo:[0,1] neg_hi:[0,1]
	s_nop 0
	v_pk_fma_f32 v[2:3], v[2:3], 2.0, v[4:5] op_sel_hi:[1,0,1] neg_lo:[0,0,1] neg_hi:[0,0,1]
	ds_write2_b64 v70, v[0:1], v[2:3] offset0:6 offset1:8
	ds_write_b64 v70, v[4:5] offset:152
	s_and_saveexec_b64 s[2:3], vcc
	s_cbranch_execz .LBB0_9
; %bb.8:
	v_pk_mul_f32 v[0:1], v[46:47], v[16:17] op_sel:[0,1]
	s_nop 0
	v_pk_fma_f32 v[2:3], v[46:47], v[16:17], v[0:1] op_sel:[0,0,1] op_sel_hi:[1,1,0]
	v_pk_fma_f32 v[0:1], v[46:47], v[16:17], v[0:1] op_sel:[0,0,1] op_sel_hi:[1,0,0] neg_lo:[1,0,0] neg_hi:[1,0,0]
	s_nop 0
	v_mov_b32_e32 v3, v1
	v_pk_add_f32 v[0:1], v[44:45], v[2:3] neg_lo:[0,1] neg_hi:[0,1]
	s_nop 0
	v_pk_fma_f32 v[2:3], v[44:45], 2.0, v[0:1] op_sel_hi:[1,0,1] neg_lo:[0,0,1] neg_hi:[0,0,1]
	ds_write_b64 v73, v[2:3] offset:80
	ds_write_b64 v72, v[0:1] offset:168
.LBB0_9:
	s_or_b64 exec, exec, s[2:3]
	s_waitcnt lgkmcnt(0)
	; wave barrier
	s_waitcnt lgkmcnt(0)
	ds_read_b64 v[2:3], v71
	v_mov_b32_e32 v4, s0
	v_mov_b32_e32 v5, s1
	v_mad_u64_u32 v[6:7], s[0:1], s6, v42, 0
	v_mov_b32_e32 v0, v7
	v_mad_u64_u32 v[0:1], s[0:1], s7, v42, v[0:1]
	v_mov_b32_e32 v7, v0
	s_waitcnt lgkmcnt(0)
	v_mul_f32_e32 v0, v27, v3
	v_fmac_f32_e32 v0, v26, v2
	s_mov_b32 s0, 0x745d1746
	v_cvt_f64_f32_e32 v[0:1], v0
	s_mov_b32 s1, 0x3fa745d1
	v_mul_f64 v[0:1], v[0:1], s[0:1]
	v_cvt_f32_f64_e32 v12, v[0:1]
	v_mul_f32_e32 v0, v27, v2
	v_fma_f32 v0, v26, v3, -v0
	v_cvt_f64_f32_e32 v[0:1], v0
	v_mul_f64 v[0:1], v[0:1], s[0:1]
	ds_read_b64 v[8:9], v73 offset:80
	ds_read_b64 v[10:11], v70 offset:160
	v_cvt_f32_f64_e32 v13, v[0:1]
	ds_read2_b64 v[0:3], v70 offset0:2 offset1:4
	v_mul_lo_u32 v15, s5, v43
	v_mul_lo_u32 v14, s4, v43
	v_lshl_add_u64 v[4:5], v[6:7], 3, v[4:5]
	v_lshl_add_u64 v[14:15], v[14:15], 3, v[4:5]
	global_store_dwordx2 v[14:15], v[12:13], off
	s_waitcnt lgkmcnt(0)
	v_mul_f32_e32 v12, v21, v1
	v_fmac_f32_e32 v12, v20, v0
	v_mul_f32_e32 v0, v21, v0
	v_fma_f32 v0, v20, v1, -v0
	v_cvt_f64_f32_e32 v[12:13], v12
	v_cvt_f64_f32_e32 v[0:1], v0
	v_mul_f64 v[12:13], v[12:13], s[0:1]
	v_mul_f64 v[0:1], v[0:1], s[0:1]
	s_lshl_b64 s[2:3], s[4:5], 4
	v_cvt_f32_f64_e32 v12, v[12:13]
	v_cvt_f32_f64_e32 v13, v[0:1]
	v_lshl_add_u64 v[0:1], v[14:15], 0, s[2:3]
	ds_read2_b64 v[4:7], v70 offset0:6 offset1:8
	global_store_dwordx2 v[0:1], v[12:13], off
	v_mul_f32_e32 v12, v25, v3
	v_fmac_f32_e32 v12, v24, v2
	v_mul_f32_e32 v2, v25, v2
	v_fma_f32 v2, v24, v3, -v2
	v_cvt_f64_f32_e32 v[12:13], v12
	v_cvt_f64_f32_e32 v[2:3], v2
	v_mul_f64 v[12:13], v[12:13], s[0:1]
	v_mul_f64 v[2:3], v[2:3], s[0:1]
	v_cvt_f32_f64_e32 v12, v[12:13]
	v_cvt_f32_f64_e32 v13, v[2:3]
	s_waitcnt lgkmcnt(0)
	v_mul_f32_e32 v2, v23, v5
	v_fmac_f32_e32 v2, v22, v4
	v_cvt_f64_f32_e32 v[2:3], v2
	v_mul_f64 v[2:3], v[2:3], s[0:1]
	v_cvt_f32_f64_e32 v2, v[2:3]
	v_mul_f32_e32 v3, v23, v4
	v_fma_f32 v3, v22, v5, -v3
	v_cvt_f64_f32_e32 v[4:5], v3
	v_lshl_add_u64 v[0:1], v[0:1], 0, s[2:3]
	v_mul_f64 v[4:5], v[4:5], s[0:1]
	global_store_dwordx2 v[0:1], v[12:13], off
	v_cvt_f32_f64_e32 v3, v[4:5]
	v_lshl_add_u64 v[0:1], v[0:1], 0, s[2:3]
	global_store_dwordx2 v[0:1], v[2:3], off
	v_mul_f32_e32 v2, v29, v7
	v_fmac_f32_e32 v2, v28, v6
	v_cvt_f64_f32_e32 v[2:3], v2
	v_mul_f64 v[2:3], v[2:3], s[0:1]
	v_cvt_f32_f64_e32 v2, v[2:3]
	v_mul_f32_e32 v3, v29, v6
	v_fma_f32 v3, v28, v7, -v3
	v_cvt_f64_f32_e32 v[4:5], v3
	v_mul_f64 v[4:5], v[4:5], s[0:1]
	v_cvt_f32_f64_e32 v3, v[4:5]
	v_lshl_add_u64 v[4:5], v[0:1], 0, s[2:3]
	v_mul_f32_e32 v0, v33, v9
	v_fmac_f32_e32 v0, v32, v8
	v_cvt_f64_f32_e32 v[0:1], v0
	v_mul_f64 v[0:1], v[0:1], s[0:1]
	v_cvt_f32_f64_e32 v6, v[0:1]
	v_mul_f32_e32 v0, v33, v8
	v_fma_f32 v0, v32, v9, -v0
	global_store_dwordx2 v[4:5], v[2:3], off
	v_cvt_f64_f32_e32 v[8:9], v0
	ds_read2_b64 v[0:3], v70 offset0:12 offset1:14
	v_mul_f64 v[8:9], v[8:9], s[0:1]
	v_cvt_f32_f64_e32 v7, v[8:9]
	v_lshl_add_u64 v[4:5], v[4:5], 0, s[2:3]
	global_store_dwordx2 v[4:5], v[6:7], off
	s_waitcnt lgkmcnt(0)
	v_mul_f32_e32 v6, v35, v1
	v_fmac_f32_e32 v6, v34, v0
	v_mul_f32_e32 v0, v35, v0
	v_fma_f32 v0, v34, v1, -v0
	v_cvt_f64_f32_e32 v[6:7], v6
	v_cvt_f64_f32_e32 v[0:1], v0
	v_mul_f64 v[6:7], v[6:7], s[0:1]
	v_mul_f64 v[0:1], v[0:1], s[0:1]
	v_cvt_f32_f64_e32 v6, v[6:7]
	v_cvt_f32_f64_e32 v7, v[0:1]
	v_mul_f32_e32 v0, v31, v3
	v_fmac_f32_e32 v0, v30, v2
	v_cvt_f64_f32_e32 v[0:1], v0
	v_lshl_add_u64 v[4:5], v[4:5], 0, s[2:3]
	v_mul_f64 v[0:1], v[0:1], s[0:1]
	global_store_dwordx2 v[4:5], v[6:7], off
	v_cvt_f32_f64_e32 v6, v[0:1]
	v_mul_f32_e32 v0, v31, v2
	v_fma_f32 v0, v30, v3, -v0
	v_cvt_f64_f32_e32 v[8:9], v0
	ds_read2_b64 v[0:3], v70 offset0:16 offset1:18
	v_mul_f64 v[8:9], v[8:9], s[0:1]
	v_cvt_f32_f64_e32 v7, v[8:9]
	v_lshl_add_u64 v[4:5], v[4:5], 0, s[2:3]
	global_store_dwordx2 v[4:5], v[6:7], off
	s_waitcnt lgkmcnt(0)
	v_mul_f32_e32 v6, v39, v1
	v_fmac_f32_e32 v6, v38, v0
	v_mul_f32_e32 v0, v39, v0
	v_fma_f32 v0, v38, v1, -v0
	v_cvt_f64_f32_e32 v[6:7], v6
	v_cvt_f64_f32_e32 v[0:1], v0
	v_mul_f64 v[6:7], v[6:7], s[0:1]
	v_mul_f64 v[0:1], v[0:1], s[0:1]
	v_cvt_f32_f64_e32 v6, v[6:7]
	v_cvt_f32_f64_e32 v7, v[0:1]
	v_lshl_add_u64 v[0:1], v[4:5], 0, s[2:3]
	v_mul_f32_e32 v4, v41, v3
	v_fmac_f32_e32 v4, v40, v2
	v_mul_f32_e32 v2, v41, v2
	v_fma_f32 v2, v40, v3, -v2
	v_cvt_f64_f32_e32 v[4:5], v4
	v_cvt_f64_f32_e32 v[2:3], v2
	v_mul_f64 v[4:5], v[4:5], s[0:1]
	v_mul_f64 v[2:3], v[2:3], s[0:1]
	v_cvt_f32_f64_e32 v4, v[4:5]
	v_cvt_f32_f64_e32 v5, v[2:3]
	v_mul_f32_e32 v2, v37, v11
	v_fmac_f32_e32 v2, v36, v10
	v_cvt_f64_f32_e32 v[2:3], v2
	v_mul_f64 v[2:3], v[2:3], s[0:1]
	v_cvt_f32_f64_e32 v2, v[2:3]
	v_mul_f32_e32 v3, v37, v10
	global_store_dwordx2 v[0:1], v[6:7], off
	v_lshl_add_u64 v[0:1], v[0:1], 0, s[2:3]
	v_fma_f32 v3, v36, v11, -v3
	global_store_dwordx2 v[0:1], v[4:5], off
	v_cvt_f64_f32_e32 v[4:5], v3
	v_mul_f64 v[4:5], v[4:5], s[0:1]
	v_cvt_f32_f64_e32 v3, v[4:5]
	v_lshl_add_u64 v[0:1], v[0:1], 0, s[2:3]
	global_store_dwordx2 v[0:1], v[2:3], off
.LBB0_10:
	s_endpgm
	.section	.rodata,"a",@progbits
	.p2align	6, 0x0
	.amdhsa_kernel bluestein_single_back_len22_dim1_sp_op_CI_CI
		.amdhsa_group_segment_fixed_size 5632
		.amdhsa_private_segment_fixed_size 0
		.amdhsa_kernarg_size 104
		.amdhsa_user_sgpr_count 2
		.amdhsa_user_sgpr_dispatch_ptr 0
		.amdhsa_user_sgpr_queue_ptr 0
		.amdhsa_user_sgpr_kernarg_segment_ptr 1
		.amdhsa_user_sgpr_dispatch_id 0
		.amdhsa_user_sgpr_kernarg_preload_length 0
		.amdhsa_user_sgpr_kernarg_preload_offset 0
		.amdhsa_user_sgpr_private_segment_size 0
		.amdhsa_uses_dynamic_stack 0
		.amdhsa_enable_private_segment 0
		.amdhsa_system_sgpr_workgroup_id_x 1
		.amdhsa_system_sgpr_workgroup_id_y 0
		.amdhsa_system_sgpr_workgroup_id_z 0
		.amdhsa_system_sgpr_workgroup_info 0
		.amdhsa_system_vgpr_workitem_id 0
		.amdhsa_next_free_vgpr 146
		.amdhsa_next_free_sgpr 36
		.amdhsa_accum_offset 148
		.amdhsa_reserve_vcc 1
		.amdhsa_float_round_mode_32 0
		.amdhsa_float_round_mode_16_64 0
		.amdhsa_float_denorm_mode_32 3
		.amdhsa_float_denorm_mode_16_64 3
		.amdhsa_dx10_clamp 1
		.amdhsa_ieee_mode 1
		.amdhsa_fp16_overflow 0
		.amdhsa_tg_split 0
		.amdhsa_exception_fp_ieee_invalid_op 0
		.amdhsa_exception_fp_denorm_src 0
		.amdhsa_exception_fp_ieee_div_zero 0
		.amdhsa_exception_fp_ieee_overflow 0
		.amdhsa_exception_fp_ieee_underflow 0
		.amdhsa_exception_fp_ieee_inexact 0
		.amdhsa_exception_int_div_zero 0
	.end_amdhsa_kernel
	.text
.Lfunc_end0:
	.size	bluestein_single_back_len22_dim1_sp_op_CI_CI, .Lfunc_end0-bluestein_single_back_len22_dim1_sp_op_CI_CI
                                        ; -- End function
	.section	.AMDGPU.csdata,"",@progbits
; Kernel info:
; codeLenInByte = 6748
; NumSgprs: 42
; NumVgprs: 146
; NumAgprs: 0
; TotalNumVgprs: 146
; ScratchSize: 0
; MemoryBound: 0
; FloatMode: 240
; IeeeMode: 1
; LDSByteSize: 5632 bytes/workgroup (compile time only)
; SGPRBlocks: 5
; VGPRBlocks: 18
; NumSGPRsForWavesPerEU: 42
; NumVGPRsForWavesPerEU: 146
; AccumOffset: 148
; Occupancy: 3
; WaveLimiterHint : 1
; COMPUTE_PGM_RSRC2:SCRATCH_EN: 0
; COMPUTE_PGM_RSRC2:USER_SGPR: 2
; COMPUTE_PGM_RSRC2:TRAP_HANDLER: 0
; COMPUTE_PGM_RSRC2:TGID_X_EN: 1
; COMPUTE_PGM_RSRC2:TGID_Y_EN: 0
; COMPUTE_PGM_RSRC2:TGID_Z_EN: 0
; COMPUTE_PGM_RSRC2:TIDIG_COMP_CNT: 0
; COMPUTE_PGM_RSRC3_GFX90A:ACCUM_OFFSET: 36
; COMPUTE_PGM_RSRC3_GFX90A:TG_SPLIT: 0
	.text
	.p2alignl 6, 3212836864
	.fill 256, 4, 3212836864
	.type	__hip_cuid_f6f62a61f11176a8,@object ; @__hip_cuid_f6f62a61f11176a8
	.section	.bss,"aw",@nobits
	.globl	__hip_cuid_f6f62a61f11176a8
__hip_cuid_f6f62a61f11176a8:
	.byte	0                               ; 0x0
	.size	__hip_cuid_f6f62a61f11176a8, 1

	.ident	"AMD clang version 19.0.0git (https://github.com/RadeonOpenCompute/llvm-project roc-6.4.0 25133 c7fe45cf4b819c5991fe208aaa96edf142730f1d)"
	.section	".note.GNU-stack","",@progbits
	.addrsig
	.addrsig_sym __hip_cuid_f6f62a61f11176a8
	.amdgpu_metadata
---
amdhsa.kernels:
  - .agpr_count:     0
    .args:
      - .actual_access:  read_only
        .address_space:  global
        .offset:         0
        .size:           8
        .value_kind:     global_buffer
      - .actual_access:  read_only
        .address_space:  global
        .offset:         8
        .size:           8
        .value_kind:     global_buffer
      - .actual_access:  read_only
        .address_space:  global
        .offset:         16
        .size:           8
        .value_kind:     global_buffer
      - .actual_access:  read_only
        .address_space:  global
        .offset:         24
        .size:           8
        .value_kind:     global_buffer
      - .actual_access:  read_only
        .address_space:  global
        .offset:         32
        .size:           8
        .value_kind:     global_buffer
      - .offset:         40
        .size:           8
        .value_kind:     by_value
      - .address_space:  global
        .offset:         48
        .size:           8
        .value_kind:     global_buffer
      - .address_space:  global
        .offset:         56
        .size:           8
        .value_kind:     global_buffer
      - .address_space:  global
        .offset:         64
        .size:           8
        .value_kind:     global_buffer
      - .address_space:  global
        .offset:         72
        .size:           8
        .value_kind:     global_buffer
      - .offset:         80
        .size:           4
        .value_kind:     by_value
      - .address_space:  global
        .offset:         88
        .size:           8
        .value_kind:     global_buffer
      - .address_space:  global
        .offset:         96
        .size:           8
        .value_kind:     global_buffer
    .group_segment_fixed_size: 5632
    .kernarg_segment_align: 8
    .kernarg_segment_size: 104
    .language:       OpenCL C
    .language_version:
      - 2
      - 0
    .max_flat_workgroup_size: 64
    .name:           bluestein_single_back_len22_dim1_sp_op_CI_CI
    .private_segment_fixed_size: 0
    .sgpr_count:     42
    .sgpr_spill_count: 0
    .symbol:         bluestein_single_back_len22_dim1_sp_op_CI_CI.kd
    .uniform_work_group_size: 1
    .uses_dynamic_stack: false
    .vgpr_count:     146
    .vgpr_spill_count: 0
    .wavefront_size: 64
amdhsa.target:   amdgcn-amd-amdhsa--gfx950
amdhsa.version:
  - 1
  - 2
...

	.end_amdgpu_metadata
